;; amdgpu-corpus repo=ROCm/rocFFT kind=compiled arch=gfx1201 opt=O3
	.text
	.amdgcn_target "amdgcn-amd-amdhsa--gfx1201"
	.amdhsa_code_object_version 6
	.protected	fft_rtc_back_len1848_factors_3_11_7_4_2_wgs_231_tpt_231_halfLds_half_ip_CI_unitstride_sbrr_dirReg ; -- Begin function fft_rtc_back_len1848_factors_3_11_7_4_2_wgs_231_tpt_231_halfLds_half_ip_CI_unitstride_sbrr_dirReg
	.globl	fft_rtc_back_len1848_factors_3_11_7_4_2_wgs_231_tpt_231_halfLds_half_ip_CI_unitstride_sbrr_dirReg
	.p2align	8
	.type	fft_rtc_back_len1848_factors_3_11_7_4_2_wgs_231_tpt_231_halfLds_half_ip_CI_unitstride_sbrr_dirReg,@function
fft_rtc_back_len1848_factors_3_11_7_4_2_wgs_231_tpt_231_halfLds_half_ip_CI_unitstride_sbrr_dirReg: ; @fft_rtc_back_len1848_factors_3_11_7_4_2_wgs_231_tpt_231_halfLds_half_ip_CI_unitstride_sbrr_dirReg
; %bb.0:
	s_clause 0x2
	s_load_b128 s[4:7], s[0:1], 0x0
	s_load_b64 s[8:9], s[0:1], 0x50
	s_load_b64 s[10:11], s[0:1], 0x18
	v_mul_u32_u24_e32 v1, 0x11c, v0
	v_mov_b32_e32 v3, 0
	s_delay_alu instid0(VALU_DEP_2) | instskip(NEXT) | instid1(VALU_DEP_1)
	v_lshrrev_b32_e32 v1, 16, v1
	v_add_nc_u32_e32 v5, ttmp9, v1
	v_mov_b32_e32 v1, 0
	v_mov_b32_e32 v2, 0
	;; [unrolled: 1-line block ×3, first 2 shown]
	s_wait_kmcnt 0x0
	v_cmp_lt_u64_e64 s2, s[6:7], 2
	s_delay_alu instid0(VALU_DEP_1)
	s_and_b32 vcc_lo, exec_lo, s2
	s_cbranch_vccnz .LBB0_8
; %bb.1:
	s_load_b64 s[2:3], s[0:1], 0x10
	v_mov_b32_e32 v1, 0
	v_mov_b32_e32 v2, 0
	s_add_nc_u64 s[12:13], s[10:11], 8
	s_mov_b64 s[14:15], 1
	s_wait_kmcnt 0x0
	s_add_nc_u64 s[16:17], s[2:3], 8
	s_mov_b32 s3, 0
.LBB0_2:                                ; =>This Inner Loop Header: Depth=1
	s_load_b64 s[18:19], s[16:17], 0x0
                                        ; implicit-def: $vgpr7_vgpr8
	s_mov_b32 s2, exec_lo
	s_wait_kmcnt 0x0
	v_or_b32_e32 v4, s19, v6
	s_delay_alu instid0(VALU_DEP_1)
	v_cmpx_ne_u64_e32 0, v[3:4]
	s_wait_alu 0xfffe
	s_xor_b32 s20, exec_lo, s2
	s_cbranch_execz .LBB0_4
; %bb.3:                                ;   in Loop: Header=BB0_2 Depth=1
	s_cvt_f32_u32 s2, s18
	s_cvt_f32_u32 s21, s19
	s_sub_nc_u64 s[24:25], 0, s[18:19]
	s_wait_alu 0xfffe
	s_delay_alu instid0(SALU_CYCLE_1) | instskip(SKIP_1) | instid1(SALU_CYCLE_2)
	s_fmamk_f32 s2, s21, 0x4f800000, s2
	s_wait_alu 0xfffe
	v_s_rcp_f32 s2, s2
	s_delay_alu instid0(TRANS32_DEP_1) | instskip(SKIP_1) | instid1(SALU_CYCLE_2)
	s_mul_f32 s2, s2, 0x5f7ffffc
	s_wait_alu 0xfffe
	s_mul_f32 s21, s2, 0x2f800000
	s_wait_alu 0xfffe
	s_delay_alu instid0(SALU_CYCLE_2) | instskip(SKIP_1) | instid1(SALU_CYCLE_2)
	s_trunc_f32 s21, s21
	s_wait_alu 0xfffe
	s_fmamk_f32 s2, s21, 0xcf800000, s2
	s_cvt_u32_f32 s23, s21
	s_wait_alu 0xfffe
	s_delay_alu instid0(SALU_CYCLE_1) | instskip(SKIP_1) | instid1(SALU_CYCLE_2)
	s_cvt_u32_f32 s22, s2
	s_wait_alu 0xfffe
	s_mul_u64 s[26:27], s[24:25], s[22:23]
	s_wait_alu 0xfffe
	s_mul_hi_u32 s29, s22, s27
	s_mul_i32 s28, s22, s27
	s_mul_hi_u32 s2, s22, s26
	s_mul_i32 s30, s23, s26
	s_wait_alu 0xfffe
	s_add_nc_u64 s[28:29], s[2:3], s[28:29]
	s_mul_hi_u32 s21, s23, s26
	s_mul_hi_u32 s31, s23, s27
	s_add_co_u32 s2, s28, s30
	s_wait_alu 0xfffe
	s_add_co_ci_u32 s2, s29, s21
	s_mul_i32 s26, s23, s27
	s_add_co_ci_u32 s27, s31, 0
	s_wait_alu 0xfffe
	s_add_nc_u64 s[26:27], s[2:3], s[26:27]
	s_wait_alu 0xfffe
	v_add_co_u32 v4, s2, s22, s26
	s_delay_alu instid0(VALU_DEP_1) | instskip(SKIP_1) | instid1(VALU_DEP_1)
	s_cmp_lg_u32 s2, 0
	s_add_co_ci_u32 s23, s23, s27
	v_readfirstlane_b32 s22, v4
	s_wait_alu 0xfffe
	s_delay_alu instid0(VALU_DEP_1)
	s_mul_u64 s[24:25], s[24:25], s[22:23]
	s_wait_alu 0xfffe
	s_mul_hi_u32 s27, s22, s25
	s_mul_i32 s26, s22, s25
	s_mul_hi_u32 s2, s22, s24
	s_mul_i32 s28, s23, s24
	s_wait_alu 0xfffe
	s_add_nc_u64 s[26:27], s[2:3], s[26:27]
	s_mul_hi_u32 s21, s23, s24
	s_mul_hi_u32 s22, s23, s25
	s_wait_alu 0xfffe
	s_add_co_u32 s2, s26, s28
	s_add_co_ci_u32 s2, s27, s21
	s_mul_i32 s24, s23, s25
	s_add_co_ci_u32 s25, s22, 0
	s_wait_alu 0xfffe
	s_add_nc_u64 s[24:25], s[2:3], s[24:25]
	s_wait_alu 0xfffe
	v_add_co_u32 v4, s2, v4, s24
	s_delay_alu instid0(VALU_DEP_1) | instskip(SKIP_1) | instid1(VALU_DEP_1)
	s_cmp_lg_u32 s2, 0
	s_add_co_ci_u32 s2, s23, s25
	v_mul_hi_u32 v13, v5, v4
	s_wait_alu 0xfffe
	v_mad_co_u64_u32 v[7:8], null, v5, s2, 0
	v_mad_co_u64_u32 v[9:10], null, v6, v4, 0
	;; [unrolled: 1-line block ×3, first 2 shown]
	s_delay_alu instid0(VALU_DEP_3) | instskip(SKIP_1) | instid1(VALU_DEP_4)
	v_add_co_u32 v4, vcc_lo, v13, v7
	s_wait_alu 0xfffd
	v_add_co_ci_u32_e32 v7, vcc_lo, 0, v8, vcc_lo
	s_delay_alu instid0(VALU_DEP_2) | instskip(SKIP_1) | instid1(VALU_DEP_2)
	v_add_co_u32 v4, vcc_lo, v4, v9
	s_wait_alu 0xfffd
	v_add_co_ci_u32_e32 v4, vcc_lo, v7, v10, vcc_lo
	s_wait_alu 0xfffd
	v_add_co_ci_u32_e32 v7, vcc_lo, 0, v12, vcc_lo
	s_delay_alu instid0(VALU_DEP_2) | instskip(SKIP_1) | instid1(VALU_DEP_2)
	v_add_co_u32 v4, vcc_lo, v4, v11
	s_wait_alu 0xfffd
	v_add_co_ci_u32_e32 v9, vcc_lo, 0, v7, vcc_lo
	s_delay_alu instid0(VALU_DEP_2) | instskip(SKIP_1) | instid1(VALU_DEP_3)
	v_mul_lo_u32 v10, s19, v4
	v_mad_co_u64_u32 v[7:8], null, s18, v4, 0
	v_mul_lo_u32 v11, s18, v9
	s_delay_alu instid0(VALU_DEP_2) | instskip(NEXT) | instid1(VALU_DEP_2)
	v_sub_co_u32 v7, vcc_lo, v5, v7
	v_add3_u32 v8, v8, v11, v10
	s_delay_alu instid0(VALU_DEP_1) | instskip(SKIP_1) | instid1(VALU_DEP_1)
	v_sub_nc_u32_e32 v10, v6, v8
	s_wait_alu 0xfffd
	v_subrev_co_ci_u32_e64 v10, s2, s19, v10, vcc_lo
	v_add_co_u32 v11, s2, v4, 2
	s_wait_alu 0xf1ff
	v_add_co_ci_u32_e64 v12, s2, 0, v9, s2
	v_sub_co_u32 v13, s2, v7, s18
	v_sub_co_ci_u32_e32 v8, vcc_lo, v6, v8, vcc_lo
	s_wait_alu 0xf1ff
	v_subrev_co_ci_u32_e64 v10, s2, 0, v10, s2
	s_delay_alu instid0(VALU_DEP_3) | instskip(NEXT) | instid1(VALU_DEP_3)
	v_cmp_le_u32_e32 vcc_lo, s18, v13
	v_cmp_eq_u32_e64 s2, s19, v8
	s_wait_alu 0xfffd
	v_cndmask_b32_e64 v13, 0, -1, vcc_lo
	v_cmp_le_u32_e32 vcc_lo, s19, v10
	s_wait_alu 0xfffd
	v_cndmask_b32_e64 v14, 0, -1, vcc_lo
	v_cmp_le_u32_e32 vcc_lo, s18, v7
	;; [unrolled: 3-line block ×3, first 2 shown]
	s_wait_alu 0xfffd
	v_cndmask_b32_e64 v15, 0, -1, vcc_lo
	v_cmp_eq_u32_e32 vcc_lo, s19, v10
	s_wait_alu 0xf1ff
	s_delay_alu instid0(VALU_DEP_2)
	v_cndmask_b32_e64 v7, v15, v7, s2
	s_wait_alu 0xfffd
	v_cndmask_b32_e32 v10, v14, v13, vcc_lo
	v_add_co_u32 v13, vcc_lo, v4, 1
	s_wait_alu 0xfffd
	v_add_co_ci_u32_e32 v14, vcc_lo, 0, v9, vcc_lo
	s_delay_alu instid0(VALU_DEP_3) | instskip(SKIP_2) | instid1(VALU_DEP_3)
	v_cmp_ne_u32_e32 vcc_lo, 0, v10
	s_wait_alu 0xfffd
	v_cndmask_b32_e32 v10, v13, v11, vcc_lo
	v_cndmask_b32_e32 v8, v14, v12, vcc_lo
	v_cmp_ne_u32_e32 vcc_lo, 0, v7
	s_wait_alu 0xfffd
	s_delay_alu instid0(VALU_DEP_2)
	v_dual_cndmask_b32 v7, v4, v10 :: v_dual_cndmask_b32 v8, v9, v8
.LBB0_4:                                ;   in Loop: Header=BB0_2 Depth=1
	s_wait_alu 0xfffe
	s_and_not1_saveexec_b32 s2, s20
	s_cbranch_execz .LBB0_6
; %bb.5:                                ;   in Loop: Header=BB0_2 Depth=1
	v_cvt_f32_u32_e32 v4, s18
	s_sub_co_i32 s20, 0, s18
	s_delay_alu instid0(VALU_DEP_1) | instskip(NEXT) | instid1(TRANS32_DEP_1)
	v_rcp_iflag_f32_e32 v4, v4
	v_mul_f32_e32 v4, 0x4f7ffffe, v4
	s_delay_alu instid0(VALU_DEP_1) | instskip(SKIP_1) | instid1(VALU_DEP_1)
	v_cvt_u32_f32_e32 v4, v4
	s_wait_alu 0xfffe
	v_mul_lo_u32 v7, s20, v4
	s_delay_alu instid0(VALU_DEP_1) | instskip(NEXT) | instid1(VALU_DEP_1)
	v_mul_hi_u32 v7, v4, v7
	v_add_nc_u32_e32 v4, v4, v7
	s_delay_alu instid0(VALU_DEP_1) | instskip(NEXT) | instid1(VALU_DEP_1)
	v_mul_hi_u32 v4, v5, v4
	v_mul_lo_u32 v7, v4, s18
	v_add_nc_u32_e32 v8, 1, v4
	s_delay_alu instid0(VALU_DEP_2) | instskip(NEXT) | instid1(VALU_DEP_1)
	v_sub_nc_u32_e32 v7, v5, v7
	v_subrev_nc_u32_e32 v9, s18, v7
	v_cmp_le_u32_e32 vcc_lo, s18, v7
	s_wait_alu 0xfffd
	s_delay_alu instid0(VALU_DEP_2) | instskip(NEXT) | instid1(VALU_DEP_1)
	v_dual_cndmask_b32 v7, v7, v9 :: v_dual_cndmask_b32 v4, v4, v8
	v_cmp_le_u32_e32 vcc_lo, s18, v7
	s_delay_alu instid0(VALU_DEP_2) | instskip(SKIP_1) | instid1(VALU_DEP_1)
	v_add_nc_u32_e32 v8, 1, v4
	s_wait_alu 0xfffd
	v_dual_cndmask_b32 v7, v4, v8 :: v_dual_mov_b32 v8, v3
.LBB0_6:                                ;   in Loop: Header=BB0_2 Depth=1
	s_wait_alu 0xfffe
	s_or_b32 exec_lo, exec_lo, s2
	s_load_b64 s[20:21], s[12:13], 0x0
	s_delay_alu instid0(VALU_DEP_1)
	v_mul_lo_u32 v4, v8, s18
	v_mul_lo_u32 v11, v7, s19
	v_mad_co_u64_u32 v[9:10], null, v7, s18, 0
	s_add_nc_u64 s[14:15], s[14:15], 1
	s_add_nc_u64 s[12:13], s[12:13], 8
	s_wait_alu 0xfffe
	v_cmp_ge_u64_e64 s2, s[14:15], s[6:7]
	s_add_nc_u64 s[16:17], s[16:17], 8
	s_delay_alu instid0(VALU_DEP_2) | instskip(NEXT) | instid1(VALU_DEP_3)
	v_add3_u32 v4, v10, v11, v4
	v_sub_co_u32 v5, vcc_lo, v5, v9
	s_wait_alu 0xfffd
	s_delay_alu instid0(VALU_DEP_2) | instskip(SKIP_3) | instid1(VALU_DEP_2)
	v_sub_co_ci_u32_e32 v4, vcc_lo, v6, v4, vcc_lo
	s_and_b32 vcc_lo, exec_lo, s2
	s_wait_kmcnt 0x0
	v_mul_lo_u32 v6, s21, v5
	v_mul_lo_u32 v4, s20, v4
	v_mad_co_u64_u32 v[1:2], null, s20, v5, v[1:2]
	s_delay_alu instid0(VALU_DEP_1)
	v_add3_u32 v2, v6, v2, v4
	s_wait_alu 0xfffe
	s_cbranch_vccnz .LBB0_9
; %bb.7:                                ;   in Loop: Header=BB0_2 Depth=1
	v_dual_mov_b32 v5, v7 :: v_dual_mov_b32 v6, v8
	s_branch .LBB0_2
.LBB0_8:
	v_dual_mov_b32 v8, v6 :: v_dual_mov_b32 v7, v5
.LBB0_9:
	s_lshl_b64 s[2:3], s[6:7], 3
	v_mul_hi_u32 v5, 0x11bb4a5, v0
	s_wait_alu 0xfffe
	s_add_nc_u64 s[2:3], s[10:11], s[2:3]
                                        ; implicit-def: $vgpr27
                                        ; implicit-def: $vgpr25
                                        ; implicit-def: $vgpr21
                                        ; implicit-def: $vgpr11
                                        ; implicit-def: $vgpr28
                                        ; implicit-def: $vgpr6
                                        ; implicit-def: $vgpr26
                                        ; implicit-def: $vgpr17
                                        ; implicit-def: $vgpr10
                                        ; implicit-def: $vgpr9
                                        ; implicit-def: $vgpr24
                                        ; implicit-def: $vgpr20
                                        ; implicit-def: $vgpr22
                                        ; implicit-def: $vgpr23
	s_load_b64 s[2:3], s[2:3], 0x0
	s_load_b64 s[0:1], s[0:1], 0x20
	s_wait_kmcnt 0x0
	v_mul_lo_u32 v3, s2, v8
	v_mul_lo_u32 v4, s3, v7
	v_mad_co_u64_u32 v[1:2], null, s2, v7, v[1:2]
	v_cmp_gt_u64_e32 vcc_lo, s[0:1], v[7:8]
                                        ; implicit-def: $vgpr8
                                        ; implicit-def: $vgpr7
	s_delay_alu instid0(VALU_DEP_2) | instskip(SKIP_1) | instid1(VALU_DEP_2)
	v_add3_u32 v2, v4, v2, v3
	v_mul_u32_u24_e32 v4, 0xe7, v5
                                        ; implicit-def: $vgpr5
	v_lshlrev_b64_e32 v[2:3], 2, v[1:2]
	s_delay_alu instid0(VALU_DEP_2)
	v_sub_nc_u32_e32 v0, v0, v4
                                        ; implicit-def: $vgpr1
	s_and_saveexec_b32 s1, vcc_lo
	s_cbranch_execz .LBB0_13
; %bb.10:
	v_mov_b32_e32 v1, 0
	s_mov_b32 s2, exec_lo
                                        ; implicit-def: $vgpr23
                                        ; implicit-def: $vgpr22
                                        ; implicit-def: $vgpr20
                                        ; implicit-def: $vgpr24
                                        ; implicit-def: $vgpr9
                                        ; implicit-def: $vgpr10
	s_delay_alu instid0(VALU_DEP_1) | instskip(SKIP_3) | instid1(VALU_DEP_2)
	v_lshlrev_b64_e32 v[4:5], 2, v[0:1]
	v_add_co_u32 v1, s0, s8, v2
	s_wait_alu 0xf1ff
	v_add_co_ci_u32_e64 v6, s0, s9, v3, s0
	v_add_co_u32 v4, s0, v1, v4
	s_wait_alu 0xf1ff
	s_delay_alu instid0(VALU_DEP_2)
	v_add_co_ci_u32_e64 v5, s0, v6, v5, s0
	s_clause 0x5
	global_load_b32 v1, v[4:5], off
	global_load_b32 v17, v[4:5], off offset:5852
	global_load_b32 v21, v[4:5], off offset:4928
	;; [unrolled: 1-line block ×5, first 2 shown]
	v_cmpx_gt_u32_e32 0x9a, v0
	s_cbranch_execz .LBB0_12
; %bb.11:
	s_clause 0x2
	global_load_b32 v9, v[4:5], off offset:1848
	global_load_b32 v20, v[4:5], off offset:4312
	;; [unrolled: 1-line block ×3, first 2 shown]
	s_wait_loadcnt 0x2
	v_lshrrev_b32_e32 v10, 16, v9
	s_wait_loadcnt 0x1
	v_lshrrev_b32_e32 v24, 16, v20
	;; [unrolled: 2-line block ×3, first 2 shown]
.LBB0_12:
	s_wait_alu 0xfffe
	s_or_b32 exec_lo, exec_lo, s2
	s_wait_loadcnt 0x5
	v_lshrrev_b32_e32 v5, 16, v1
	s_wait_loadcnt 0x1
	v_lshrrev_b32_e32 v27, 16, v8
	v_lshrrev_b32_e32 v25, 16, v21
	s_wait_loadcnt 0x0
	v_lshrrev_b32_e32 v11, 16, v7
	v_lshrrev_b32_e32 v28, 16, v6
	v_lshrrev_b32_e32 v26, 16, v17
.LBB0_13:
	s_wait_alu 0xfffe
	s_or_b32 exec_lo, exec_lo, s1
	v_add_f16_e32 v4, v8, v21
	v_add_f16_e32 v12, v1, v8
	v_sub_f16_e32 v13, v27, v25
	v_add_f16_e32 v14, v6, v17
	v_add_f16_e32 v15, v7, v6
	v_fmac_f16_e32 v1, -0.5, v4
	v_add_f16_e32 v16, v20, v23
	v_add_f16_e32 v4, v12, v21
	v_fmac_f16_e32 v7, -0.5, v14
	v_sub_f16_e32 v18, v28, v26
	v_fmamk_f16 v12, v13, 0xbaee, v1
	v_fmac_f16_e32 v1, 0x3aee, v13
	v_add_f16_e32 v13, v15, v17
	v_add_f16_e32 v15, v9, v20
	v_fmac_f16_e32 v9, -0.5, v16
	v_sub_f16_e32 v19, v24, v22
	v_fmamk_f16 v14, v18, 0xbaee, v7
	v_fmac_f16_e32 v7, 0x3aee, v18
	v_mad_u32_u24 v29, v0, 6, 0
	v_add_f16_e32 v15, v15, v23
	v_fmamk_f16 v16, v19, 0xbaee, v9
	v_fmac_f16_e32 v9, 0x3aee, v19
	v_cmp_gt_u32_e64 s0, 0x9a, v0
	ds_store_b16 v29, v4
	ds_store_b16 v29, v12 offset:2
	ds_store_b16 v29, v1 offset:4
	;; [unrolled: 1-line block ×5, first 2 shown]
	s_and_saveexec_b32 s1, s0
	s_cbranch_execz .LBB0_15
; %bb.14:
	ds_store_b16 v29, v15 offset:2772
	ds_store_b16 v29, v16 offset:2774
	;; [unrolled: 1-line block ×3, first 2 shown]
.LBB0_15:
	s_wait_alu 0xfffe
	s_or_b32 exec_lo, exec_lo, s1
	v_cmp_gt_u32_e64 s1, 0xa8, v0
	v_lshlrev_b32_e32 v30, 2, v0
	global_wb scope:SCOPE_SE
	s_wait_dscnt 0x0
	s_barrier_signal -1
	s_barrier_wait -1
	global_inv scope:SCOPE_SE
                                        ; implicit-def: $vgpr18
                                        ; implicit-def: $vgpr19
	s_and_saveexec_b32 s2, s1
	s_cbranch_execz .LBB0_17
; %bb.16:
	v_sub_nc_u32_e32 v19, v29, v30
	ds_load_u16 v4, v19
	ds_load_u16 v12, v19 offset:336
	ds_load_u16 v1, v19 offset:672
	;; [unrolled: 1-line block ×10, first 2 shown]
.LBB0_17:
	s_wait_alu 0xfffe
	s_or_b32 exec_lo, exec_lo, s2
	v_add_f16_e32 v31, v27, v25
	v_add_f16_e32 v27, v5, v27
	v_sub_f16_e32 v32, v8, v21
	v_add_f16_e32 v21, v28, v26
	v_add_f16_e32 v28, v11, v28
	v_fmac_f16_e32 v5, -0.5, v31
	v_add_f16_e32 v31, v24, v22
	v_sub_f16_e32 v6, v6, v17
	v_fmac_f16_e32 v11, -0.5, v21
	v_add_f16_e32 v17, v10, v24
	v_sub_f16_e32 v20, v20, v23
	v_fmac_f16_e32 v10, -0.5, v31
	v_add_f16_e32 v8, v27, v25
	v_fmamk_f16 v21, v32, 0x3aee, v5
	v_fmac_f16_e32 v5, 0xbaee, v32
	v_add_f16_e32 v24, v28, v26
	v_fmamk_f16 v23, v6, 0x3aee, v11
	v_fmac_f16_e32 v11, 0xbaee, v6
	;; [unrolled: 3-line block ×3, first 2 shown]
	global_wb scope:SCOPE_SE
	s_wait_dscnt 0x0
	s_barrier_signal -1
	s_barrier_wait -1
	global_inv scope:SCOPE_SE
	ds_store_b16 v29, v8
	ds_store_b16 v29, v21 offset:2
	ds_store_b16 v29, v5 offset:4
	;; [unrolled: 1-line block ×5, first 2 shown]
	s_and_saveexec_b32 s2, s0
	s_cbranch_execz .LBB0_19
; %bb.18:
	ds_store_b16 v29, v22 offset:2772
	ds_store_b16 v29, v17 offset:2774
	;; [unrolled: 1-line block ×3, first 2 shown]
.LBB0_19:
	s_wait_alu 0xfffe
	s_or_b32 exec_lo, exec_lo, s2
	global_wb scope:SCOPE_SE
	s_wait_dscnt 0x0
	s_barrier_signal -1
	s_barrier_wait -1
	global_inv scope:SCOPE_SE
                                        ; implicit-def: $vgpr41
                                        ; implicit-def: $vgpr42
	s_and_saveexec_b32 s0, s1
	s_cbranch_execz .LBB0_21
; %bb.20:
	v_sub_nc_u32_e32 v6, v29, v30
	ds_load_u16 v8, v6
	ds_load_u16 v21, v6 offset:336
	ds_load_u16 v5, v6 offset:672
	;; [unrolled: 1-line block ×10, first 2 shown]
.LBB0_21:
	s_wait_alu 0xfffe
	s_or_b32 exec_lo, exec_lo, s0
	v_and_b32_e32 v6, 0xff, v0
	s_delay_alu instid0(VALU_DEP_1) | instskip(NEXT) | instid1(VALU_DEP_1)
	v_mul_lo_u16 v20, 0xab, v6
	v_lshrrev_b16 v50, 9, v20
	s_delay_alu instid0(VALU_DEP_1) | instskip(NEXT) | instid1(VALU_DEP_1)
	v_mul_lo_u16 v20, v50, 3
	v_sub_nc_u16 v20, v0, v20
	s_delay_alu instid0(VALU_DEP_1) | instskip(NEXT) | instid1(VALU_DEP_1)
	v_and_b32_e32 v51, 0xff, v20
	v_mul_u32_u24_e32 v20, 10, v51
	s_delay_alu instid0(VALU_DEP_1)
	v_lshlrev_b32_e32 v20, 2, v20
	s_clause 0x2
	global_load_b128 v[25:28], v20, s[4:5]
	global_load_b128 v[43:46], v20, s[4:5] offset:16
	global_load_b64 v[47:48], v20, s[4:5] offset:32
	global_wb scope:SCOPE_SE
	s_wait_loadcnt_dscnt 0x0
	s_barrier_signal -1
	s_barrier_wait -1
	global_inv scope:SCOPE_SE
	v_lshrrev_b32_e32 v20, 16, v25
	v_lshrrev_b32_e32 v32, 16, v43
	;; [unrolled: 1-line block ×9, first 2 shown]
	v_mul_f16_e32 v34, v21, v20
	v_mul_f16_e32 v52, v12, v20
	;; [unrolled: 1-line block ×14, first 2 shown]
	v_lshrrev_b32_e32 v30, 16, v27
	v_mul_f16_e32 v35, v5, v29
	v_mul_f16_e32 v29, v1, v29
	;; [unrolled: 1-line block ×4, first 2 shown]
	v_fma_f16 v31, v21, v25, -v52
	v_fmac_f16_e32 v40, v19, v48
	v_fma_f16 v19, v42, v48, -v49
	v_mul_f16_e32 v36, v24, v30
	v_mul_f16_e32 v53, v13, v30
	v_fmac_f16_e32 v34, v12, v25
	v_fmac_f16_e32 v35, v1, v26
	v_fma_f16 v30, v5, v26, -v29
	v_fma_f16 v26, v22, v44, -v56
	;; [unrolled: 1-line block ×3, first 2 shown]
	v_sub_f16_e32 v49, v31, v19
	v_fmac_f16_e32 v36, v13, v27
	v_fma_f16 v29, v24, v27, -v53
	v_fmac_f16_e32 v20, v7, v43
	v_fma_f16 v27, v11, v43, -v55
	;; [unrolled: 2-line block ×3, first 2 shown]
	v_add_f16_e32 v41, v34, v40
	v_sub_f16_e32 v48, v30, v22
	v_pk_mul_f16 v12, 0xb853bb47, v49 op_sel_hi:[1,0]
	v_pk_mul_f16 v43, 0xbbebba0c, v49 op_sel_hi:[1,0]
	v_fmac_f16_e32 v33, v14, v28
	v_fma_f16 v28, v23, v28, -v54
	v_fmac_f16_e32 v32, v15, v44
	v_fma_f16 v25, v17, v45, -v57
	v_fmac_f16_e32 v38, v9, v46
	v_add_f16_e32 v18, v35, v39
	v_sub_f16_e32 v47, v29, v24
	v_pk_mul_f16 v10, 0xbb47ba0c, v48 op_sel_hi:[1,0]
	v_pk_mul_f16 v44, 0x34823beb, v48 op_sel_hi:[1,0]
	v_pk_fma_f16 v1, 0x3abb36a6, v41, v12 op_sel_hi:[1,0,1] neg_lo:[0,0,1] neg_hi:[0,0,1]
	v_pk_fma_f16 v5, 0xb08eb93d, v41, v43 op_sel_hi:[1,0,1] neg_lo:[0,0,1] neg_hi:[0,0,1]
	v_fmac_f16_e32 v37, v16, v45
	v_add_f16_e32 v17, v36, v38
	v_sub_f16_e32 v46, v28, v25
	v_pk_mul_f16 v9, 0xbbeb3482, v47 op_sel_hi:[1,0]
	v_pk_mul_f16 v42, 0x3b47b853, v47 op_sel_hi:[1,0]
	v_pk_fma_f16 v13, 0x36a6b93d, v18, v10 op_sel_hi:[1,0,1] neg_lo:[0,0,1] neg_hi:[0,0,1]
	v_pk_fma_f16 v21, 0xbbadb08e, v18, v44 op_sel_hi:[1,0,1] neg_lo:[0,0,1] neg_hi:[0,0,1]
	v_pk_add_f16 v1, v4, v1 op_sel_hi:[0,1]
	v_pk_add_f16 v5, v4, v5 op_sel_hi:[0,1]
	v_add_f16_e32 v16, v33, v37
	v_sub_f16_e32 v45, v27, v26
	v_pk_mul_f16 v11, 0xba0c3beb, v46 op_sel_hi:[1,0]
	v_pk_mul_f16 v14, 0xb853b482, v46 op_sel_hi:[1,0]
	v_pk_fma_f16 v23, 0xb08ebbad, v17, v9 op_sel_hi:[1,0,1] neg_lo:[0,0,1] neg_hi:[0,0,1]
	v_pk_fma_f16 v52, 0x36a63abb, v17, v42 op_sel_hi:[1,0,1] neg_lo:[0,0,1] neg_hi:[0,0,1]
	v_pk_add_f16 v1, v13, v1
	v_pk_add_f16 v5, v21, v5
	v_add_f16_e32 v15, v20, v32
	v_pk_mul_f16 v7, 0xb4823853, v45 op_sel_hi:[1,0]
	v_pk_mul_f16 v13, 0xba0c3b47, v45 op_sel_hi:[1,0]
	v_pk_fma_f16 v21, 0xb93db08e, v16, v11 op_sel_hi:[1,0,1] neg_lo:[0,0,1] neg_hi:[0,0,1]
	v_pk_fma_f16 v53, 0x3abbbbad, v16, v14 op_sel_hi:[1,0,1] neg_lo:[0,0,1] neg_hi:[0,0,1]
	v_pk_add_f16 v1, v23, v1
	v_pk_add_f16 v5, v52, v5
	v_pk_fma_f16 v52, 0xbbad3abb, v15, v7 op_sel_hi:[1,0,1] neg_lo:[0,0,1] neg_hi:[0,0,1]
	v_pk_fma_f16 v54, 0xb93d36a6, v15, v13 op_sel_hi:[1,0,1] neg_lo:[0,0,1] neg_hi:[0,0,1]
	v_and_b32_e32 v23, 0xffff, v50
	v_pk_add_f16 v1, v21, v1
	v_pk_add_f16 v21, v53, v5
	s_delay_alu instid0(VALU_DEP_2) | instskip(NEXT) | instid1(VALU_DEP_2)
	v_pk_add_f16 v5, v52, v1
	v_pk_add_f16 v1, v54, v21
	v_lshlrev_b32_e32 v21, 1, v51
	s_and_saveexec_b32 s0, s1
	s_cbranch_execz .LBB0_23
; %bb.22:
	v_add_f16_e32 v50, v4, v34
	v_mul_f16_e32 v49, 0xb482, v49
	v_pk_mul_f16 v51, 0x3abb36a6, v41 op_sel_hi:[1,0]
	v_pk_mul_f16 v56, 0xb08eb93d, v41 op_sel_hi:[1,0]
	v_mul_f16_e32 v48, 0x3853, v48
	v_add_f16_e32 v50, v50, v35
	v_fma_f16 v61, v41, 0xbbad, -v49
	v_fmac_f16_e32 v49, 0xbbad, v41
	v_pk_mul_f16 v52, 0x36a6b93d, v18 op_sel_hi:[1,0]
	v_pk_mul_f16 v57, 0xbbadb08e, v18 op_sel_hi:[1,0]
	v_add_f16_e32 v50, v50, v36
	v_mul_f16_e32 v47, 0xba0c, v47
	v_mul_f16_e32 v46, 0x3b47, v46
	v_fma_f16 v62, v18, 0x3abb, -v48
	v_fmac_f16_e32 v48, 0x3abb, v18
	v_add_f16_e32 v50, v50, v33
	v_add_f16_e32 v18, v4, v61
	;; [unrolled: 1-line block ×3, first 2 shown]
	v_pk_mul_f16 v53, 0xb08ebbad, v17 op_sel_hi:[1,0]
	v_pk_mul_f16 v54, 0xb93db08e, v16 op_sel_hi:[1,0]
	v_add_f16_e32 v50, v50, v20
	v_pk_mul_f16 v58, 0x36a63abb, v17 op_sel_hi:[1,0]
	v_pk_mul_f16 v59, 0x3abbbbad, v16 op_sel_hi:[1,0]
	v_fma_f16 v63, v17, 0xb93d, -v47
	v_fma_f16 v64, v16, 0x36a6, -v46
	v_add_f16_e32 v41, v50, v32
	v_fmac_f16_e32 v47, 0xb93d, v17
	v_fmac_f16_e32 v46, 0x36a6, v16
	v_add_f16_e32 v16, v62, v18
	v_add_f16_e32 v17, v48, v49
	v_add_f16_e32 v41, v41, v37
	v_mul_f16_e32 v45, 0xbbeb, v45
	v_pk_add_f16 v12, v51, v12
	v_add_f16_e32 v16, v63, v16
	v_add_f16_e32 v17, v47, v17
	;; [unrolled: 1-line block ×3, first 2 shown]
	v_pk_add_f16 v41, v56, v43
	v_pk_add_f16 v43, v57, v44
	v_pk_mul_f16 v55, 0xbbad3abb, v15 op_sel_hi:[1,0]
	v_pk_mul_f16 v60, 0xb93d36a6, v15 op_sel_hi:[1,0]
	v_add_f16_e32 v18, v18, v39
	v_add_f16_e32 v44, v4, v41
	v_fma_f16 v50, v15, 0xb08e, -v45
	v_fmac_f16_e32 v45, 0xb08e, v15
	v_add_f16_e32 v15, v64, v16
	v_add_f16_e32 v16, v46, v17
	;; [unrolled: 1-line block ×4, first 2 shown]
	v_lshrrev_b32_e32 v41, 16, v41
	v_lshrrev_b32_e32 v44, 16, v12
	v_pk_add_f16 v10, v52, v10
	v_add_f16_e32 v16, v45, v16
	v_lshrrev_b32_e32 v43, 16, v43
	v_add_f16_e32 v41, v4, v41
	v_add_f16_e32 v44, v4, v44
	v_lshrrev_b32_e32 v45, 16, v10
	v_pk_add_f16 v9, v53, v9
	v_pk_add_f16 v42, v58, v42
	v_add_f16_e32 v4, v4, v12
	v_add_f16_e32 v41, v43, v41
	;; [unrolled: 1-line block ×3, first 2 shown]
	v_lshrrev_b32_e32 v43, 16, v9
	v_pk_add_f16 v11, v54, v11
	v_add_f16_e32 v18, v42, v18
	v_pk_add_f16 v14, v59, v14
	v_lshrrev_b32_e32 v42, 16, v42
	v_add_f16_e32 v4, v10, v4
	v_add_f16_e32 v10, v43, v12
	v_lshrrev_b32_e32 v12, 16, v11
	v_pk_add_f16 v7, v55, v7
	v_add_f16_e32 v41, v42, v41
	v_lshrrev_b32_e32 v42, 16, v14
	v_add_f16_e32 v4, v9, v4
	v_pk_add_f16 v13, v60, v13
	v_add_f16_e32 v10, v12, v10
	v_mul_u32_u24_e32 v12, 0x42, v23
	v_add_f16_e32 v9, v42, v41
	v_lshrrev_b32_e32 v41, 16, v7
	v_add_f16_e32 v4, v11, v4
	v_lshrrev_b32_e32 v11, 16, v13
	v_add_f16_e32 v14, v14, v18
	v_add3_u32 v12, 0, v12, v21
	v_add_f16_e32 v10, v41, v10
	v_add_f16_e32 v4, v7, v4
	v_add_f16_e32 v7, v11, v9
	v_add_f16_e32 v9, v13, v14
	v_add_f16_e32 v15, v50, v15
	ds_store_b16 v12, v17
	ds_store_b16 v12, v10 offset:6
	ds_store_b16 v12, v4 offset:12
	;; [unrolled: 1-line block ×7, first 2 shown]
	ds_store_b16_d16_hi v12, v1 offset:48
	ds_store_b16 v12, v5 offset:54
	ds_store_b16_d16_hi v12, v5 offset:60
.LBB0_23:
	s_wait_alu 0xfffe
	s_or_b32 exec_lo, exec_lo, s0
	v_lshl_add_u32 v4, v0, 1, 0
	global_wb scope:SCOPE_SE
	s_wait_dscnt 0x0
	s_barrier_signal -1
	s_barrier_wait -1
	global_inv scope:SCOPE_SE
	ds_load_u16 v9, v4
	ds_load_u16 v18, v4 offset:528
	ds_load_u16 v17, v4 offset:1056
	;; [unrolled: 1-line block ×6, first 2 shown]
	v_cmp_gt_u32_e64 s0, 33, v0
                                        ; implicit-def: $vgpr11
                                        ; implicit-def: $vgpr10
                                        ; implicit-def: $vgpr12
	s_delay_alu instid0(VALU_DEP_1)
	s_and_saveexec_b32 s2, s0
	s_cbranch_execz .LBB0_25
; %bb.24:
	ds_load_u16 v1, v4 offset:462
	ds_load_u16 v5, v4 offset:1518
	;; [unrolled: 1-line block ×4, first 2 shown]
	s_wait_dscnt 0x3
	ds_load_u16_d16_hi v1, v4 offset:990
	s_wait_dscnt 0x3
	ds_load_u16_d16_hi v5, v4 offset:2046
	ds_load_u16 v12, v4 offset:3102
.LBB0_25:
	s_wait_alu 0xfffe
	s_or_b32 exec_lo, exec_lo, s2
	v_add_f16_e32 v51, v31, v19
	v_sub_f16_e32 v44, v34, v40
	v_add_f16_e32 v50, v30, v22
	v_sub_f16_e32 v43, v36, v38
	v_sub_f16_e32 v42, v35, v39
	v_pk_mul_f16 v41, 0xb08e3abb, v51 op_sel_hi:[1,0]
	v_pk_mul_f16 v38, 0x36a6b93d, v51 op_sel_hi:[1,0]
	v_add_f16_e32 v47, v29, v24
	v_sub_f16_e32 v45, v33, v37
	v_pk_mul_f16 v46, 0xbbad36a6, v50 op_sel_hi:[1,0]
	v_pk_fma_f16 v7, 0xbbebb853, v44, v41 op_sel_hi:[1,0,1]
	v_sub_f16_e32 v32, v20, v32
	v_pk_fma_f16 v20, 0xbb47ba0c, v44, v38 op_sel_hi:[1,0,1]
	v_pk_mul_f16 v37, 0xb93db08e, v50 op_sel_hi:[1,0]
	v_add_f16_e32 v48, v28, v25
	v_pk_add_f16 v7, v8, v7 op_sel_hi:[0,1]
	v_pk_fma_f16 v34, 0x3482bb47, v42, v46 op_sel_hi:[1,0,1]
	v_pk_mul_f16 v49, 0x36a6b08e, v47 op_sel_hi:[1,0]
	v_pk_add_f16 v20, v8, v20 op_sel_hi:[0,1]
	v_pk_fma_f16 v35, 0xba0c3beb, v42, v37 op_sel_hi:[1,0,1]
	v_pk_mul_f16 v36, 0xbbad3abb, v47 op_sel_hi:[1,0]
	v_add_f16_e32 v33, v27, v26
	v_pk_add_f16 v7, v34, v7
	v_pk_fma_f16 v34, 0x3b47bbeb, v43, v49 op_sel_hi:[1,0,1]
	v_pk_mul_f16 v40, 0x3abbb93d, v48 op_sel_hi:[1,0]
	v_pk_add_f16 v20, v35, v20
	v_pk_fma_f16 v52, 0x3482b853, v43, v36 op_sel_hi:[1,0,1]
	v_pk_mul_f16 v35, 0xb08ebbad, v48 op_sel_hi:[1,0]
	;; [unrolled: 3-line block ×4, first 2 shown]
	v_pk_add_f16 v7, v53, v7
	v_pk_fma_f16 v53, 0xba0cb482, v32, v39 op_sel_hi:[1,0,1]
	global_wb scope:SCOPE_SE
	s_wait_dscnt 0x0
	v_pk_add_f16 v52, v52, v20
	v_pk_fma_f16 v54, 0x38533b47, v32, v34 op_sel_hi:[1,0,1]
	s_barrier_signal -1
	v_pk_add_f16 v20, v53, v7
	s_barrier_wait -1
	global_inv scope:SCOPE_SE
	v_pk_add_f16 v7, v54, v52
	s_and_saveexec_b32 s2, s1
	s_cbranch_execz .LBB0_27
; %bb.26:
	v_add_f16_e32 v31, v8, v31
	v_mul_f16_e32 v51, 0xbbad, v51
	v_mul_f16_e32 v50, 0x3abb, v50
	v_pk_mul_f16 v52, 0xbbebb853, v44 op_sel_hi:[1,0]
	v_pk_mul_f16 v53, 0x3482bb47, v42 op_sel_hi:[1,0]
	v_add_f16_e32 v30, v31, v30
	v_pk_mul_f16 v54, 0x3b47bbeb, v43 op_sel_hi:[1,0]
	v_pk_mul_f16 v57, 0xba0c3beb, v42 op_sel_hi:[1,0]
	;; [unrolled: 1-line block ×3, first 2 shown]
	v_pk_add_f16 v41, v41, v52 neg_lo:[0,1] neg_hi:[0,1]
	v_add_f16_e32 v29, v30, v29
	v_pk_mul_f16 v56, 0xbb47ba0c, v44 op_sel_hi:[1,0]
	v_pk_mul_f16 v55, 0xb853ba0c, v45 op_sel_hi:[1,0]
	;; [unrolled: 1-line block ×3, first 2 shown]
	v_pk_add_f16 v37, v37, v57 neg_lo:[0,1] neg_hi:[0,1]
	v_add_f16_e32 v28, v29, v28
	v_mul_f16_e32 v29, 0xb93d, v47
	v_mul_f16_e32 v47, 0x36a6, v48
	v_fmamk_f16 v48, v44, 0x3482, v51
	v_fmac_f16_e32 v51, 0xb482, v44
	v_add_f16_e32 v27, v28, v27
	v_fmamk_f16 v28, v42, 0xb853, v50
	v_fmac_f16_e32 v50, 0x3853, v42
	v_fmamk_f16 v42, v43, 0x3a0c, v29
	v_fmac_f16_e32 v29, 0xba0c, v43
	v_add_f16_e32 v26, v27, v26
	v_add_f16_e32 v43, v8, v48
	v_pk_add_f16 v44, v46, v53 neg_lo:[0,1] neg_hi:[0,1]
	v_fmamk_f16 v27, v45, 0xbb47, v47
	v_fmac_f16_e32 v47, 0x3b47, v45
	v_add_f16_e32 v25, v26, v25
	v_add_f16_e32 v26, v8, v51
	;; [unrolled: 1-line block ×3, first 2 shown]
	v_pk_add_f16 v45, v49, v54 neg_lo:[0,1] neg_hi:[0,1]
	v_pk_mul_f16 v31, 0xba0cb482, v32 op_sel_hi:[1,0]
	v_add_f16_e32 v24, v25, v24
	v_add_f16_e32 v25, v50, v26
	;; [unrolled: 1-line block ×3, first 2 shown]
	v_lshrrev_b32_e32 v41, 16, v41
	v_add_f16_e32 v28, v42, v28
	v_add_f16_e32 v22, v24, v22
	;; [unrolled: 1-line block ×3, first 2 shown]
	v_lshrrev_b32_e32 v25, 16, v44
	v_add_f16_e32 v29, v8, v41
	v_add_f16_e32 v27, v27, v28
	;; [unrolled: 1-line block ×5, first 2 shown]
	v_pk_add_f16 v26, v38, v56 neg_lo:[0,1] neg_hi:[0,1]
	v_add_f16_e32 v25, v25, v29
	v_lshrrev_b32_e32 v28, 16, v45
	v_pk_add_f16 v29, v40, v55 neg_lo:[0,1] neg_hi:[0,1]
	v_add_f16_e32 v24, v45, v24
	v_lshrrev_b32_e32 v38, 16, v26
	;; [unrolled: 3-line block ×3, first 2 shown]
	v_add_f16_e32 v24, v29, v24
	v_add_f16_e32 v29, v8, v38
	v_lshrrev_b32_e32 v38, 16, v37
	v_add_f16_e32 v8, v8, v26
	v_add_f16_e32 v25, v28, v25
	v_pk_add_f16 v28, v39, v31 neg_lo:[0,1] neg_hi:[0,1]
	v_pk_mul_f16 v59, 0x38533b47, v32 op_sel_hi:[1,0]
	v_add_f16_e32 v26, v38, v29
	v_lshrrev_b32_e32 v29, 16, v36
	v_pk_add_f16 v30, v35, v30 neg_lo:[0,1] neg_hi:[0,1]
	v_add_f16_e32 v8, v37, v8
	v_lshrrev_b32_e32 v31, 16, v28
	v_add_f16_e32 v24, v28, v24
	v_add_f16_e32 v26, v29, v26
	v_lshrrev_b32_e32 v28, 16, v30
	v_pk_add_f16 v29, v34, v59 neg_lo:[0,1] neg_hi:[0,1]
	v_add_f16_e32 v8, v36, v8
	v_add_f16_e32 v25, v31, v25
	v_mul_f16_e32 v31, 0xb08e, v33
	v_mul_u32_u24_e32 v23, 0x42, v23
	v_add_f16_e32 v26, v28, v26
	v_lshrrev_b32_e32 v28, 16, v29
	v_add_f16_e32 v8, v30, v8
	v_fmamk_f16 v30, v32, 0x3beb, v31
	v_fmac_f16_e32 v31, 0xbbeb, v32
	v_add3_u32 v21, 0, v23, v21
	v_add_f16_e32 v23, v28, v26
	v_add_f16_e32 v8, v29, v8
	;; [unrolled: 1-line block ×4, first 2 shown]
	ds_store_b16 v21, v19
	ds_store_b16 v21, v24 offset:6
	ds_store_b16 v21, v23 offset:12
	;; [unrolled: 1-line block ×7, first 2 shown]
	ds_store_b16_d16_hi v21, v20 offset:48
	ds_store_b16_d16_hi v21, v7 offset:54
	ds_store_b16 v21, v20 offset:60
.LBB0_27:
	s_wait_alu 0xfffe
	s_or_b32 exec_lo, exec_lo, s2
	global_wb scope:SCOPE_SE
	s_wait_dscnt 0x0
	s_barrier_signal -1
	s_barrier_wait -1
	global_inv scope:SCOPE_SE
	ds_load_u16 v8, v4
	ds_load_u16 v29, v4 offset:528
	ds_load_u16 v28, v4 offset:1056
	;; [unrolled: 1-line block ×6, first 2 shown]
                                        ; implicit-def: $vgpr22
                                        ; implicit-def: $vgpr19
                                        ; implicit-def: $vgpr23
	s_and_saveexec_b32 s1, s0
	s_cbranch_execz .LBB0_29
; %bb.28:
	ds_load_u16 v20, v4 offset:2046
	ds_load_u16 v7, v4 offset:462
	;; [unrolled: 1-line block ×3, first 2 shown]
	s_wait_dscnt 0x2
	ds_load_u16_d16_hi v20, v4 offset:990
	ds_load_u16 v22, v4 offset:2574
	s_wait_dscnt 0x3
	ds_load_u16_d16_hi v7, v4 offset:1518
	ds_load_u16 v23, v4 offset:3102
.LBB0_29:
	s_wait_alu 0xfffe
	s_or_b32 exec_lo, exec_lo, s1
	v_mul_lo_u16 v6, 0xf9, v6
	v_add_nc_u32_e32 v30, 0xe7, v0
	v_lshrrev_b32_e32 v48, 16, v1
	s_wait_dscnt 0x3
	v_lshrrev_b32_e32 v49, 16, v20
	s_wait_dscnt 0x1
	v_lshrrev_b32_e32 v50, 16, v7
	v_lshrrev_b16 v6, 13, v6
	v_and_b32_e32 v31, 0xffff, v30
	v_lshrrev_b32_e32 v51, 16, v5
	s_delay_alu instid0(VALU_DEP_3) | instskip(NEXT) | instid1(VALU_DEP_3)
	v_mul_lo_u16 v21, v6, 33
	v_mul_u32_u24_e32 v31, 0xf83f, v31
	v_and_b32_e32 v6, 0xffff, v6
	s_delay_alu instid0(VALU_DEP_3) | instskip(NEXT) | instid1(VALU_DEP_3)
	v_sub_nc_u16 v21, v0, v21
	v_lshrrev_b32_e32 v31, 21, v31
	s_delay_alu instid0(VALU_DEP_3) | instskip(NEXT) | instid1(VALU_DEP_3)
	v_mul_u32_u24_e32 v6, 0x1ce, v6
	v_and_b32_e32 v21, 0xff, v21
	s_delay_alu instid0(VALU_DEP_3) | instskip(NEXT) | instid1(VALU_DEP_2)
	v_mul_lo_u16 v31, v31, 33
	v_mul_u32_u24_e32 v32, 6, v21
	s_delay_alu instid0(VALU_DEP_2) | instskip(SKIP_1) | instid1(VALU_DEP_3)
	v_sub_nc_u16 v30, v30, v31
	v_lshlrev_b32_e32 v21, 1, v21
	v_lshlrev_b32_e32 v32, 2, v32
	s_delay_alu instid0(VALU_DEP_3) | instskip(NEXT) | instid1(VALU_DEP_3)
	v_and_b32_e32 v30, 0xffff, v30
	v_add3_u32 v21, 0, v6, v21
	s_clause 0x1
	global_load_b128 v[36:39], v32, s[4:5] offset:120
	global_load_b64 v[44:45], v32, s[4:5] offset:136
	v_mul_u32_u24_e32 v31, 6, v30
	v_lshl_add_u32 v6, v30, 1, 0
	s_delay_alu instid0(VALU_DEP_2)
	v_lshlrev_b32_e32 v31, 2, v31
	s_clause 0x1
	global_load_b128 v[40:43], v31, s[4:5] offset:120
	global_load_b64 v[46:47], v31, s[4:5] offset:136
	global_wb scope:SCOPE_SE
	s_wait_loadcnt_dscnt 0x0
	s_barrier_signal -1
	s_barrier_wait -1
	global_inv scope:SCOPE_SE
	v_lshrrev_b32_e32 v30, 16, v36
	v_lshrrev_b32_e32 v32, 16, v37
	;; [unrolled: 1-line block ×6, first 2 shown]
	v_mul_f16_e32 v31, v29, v30
	v_mul_f16_e32 v53, v18, v30
	;; [unrolled: 1-line block ×12, first 2 shown]
	v_fmac_f16_e32 v31, v18, v36
	v_fmac_f16_e32 v30, v17, v37
	;; [unrolled: 1-line block ×6, first 2 shown]
	v_lshrrev_b32_e32 v13, 16, v40
	v_lshrrev_b32_e32 v15, 16, v41
	v_lshrrev_b32_e32 v16, 16, v42
	v_fma_f16 v29, v29, v36, -v53
	v_fma_f16 v28, v28, v37, -v54
	;; [unrolled: 1-line block ×5, first 2 shown]
	v_lshrrev_b32_e32 v17, 16, v43
	v_lshrrev_b32_e32 v18, 16, v46
	v_mul_f16_e32 v14, v49, v13
	v_mul_f16_e32 v25, v48, v13
	;; [unrolled: 1-line block ×4, first 2 shown]
	v_add_f16_e32 v53, v31, v35
	v_add_f16_e32 v55, v30, v34
	v_fma_f16 v38, v24, v45, -v52
	v_lshrrev_b32_e32 v24, 16, v47
	v_mul_f16_e32 v26, v5, v15
	v_mul_f16_e32 v15, v20, v16
	;; [unrolled: 1-line block ×6, first 2 shown]
	v_sub_f16_e32 v56, v28, v37
	v_add_f16_e32 v57, v32, v33
	v_sub_f16_e32 v58, v36, v27
	v_fmac_f16_e32 v13, v5, v41
	v_fma_f16 v5, v20, v42, -v39
	v_add_f16_e32 v20, v55, v53
	v_sub_f16_e32 v54, v29, v38
	v_mul_f16_e32 v18, v19, v24
	v_mul_f16_e32 v52, v10, v24
	v_fmac_f16_e32 v14, v48, v40
	v_fma_f16 v24, v49, v40, -v25
	v_fmac_f16_e32 v17, v12, v46
	v_fma_f16 v12, v23, v46, -v45
	v_sub_f16_e32 v23, v53, v57
	v_sub_f16_e32 v40, v58, v56
	v_add_f16_e32 v20, v57, v20
	v_fma_f16 v25, v50, v41, -v26
	v_fmac_f16_e32 v15, v51, v42
	v_sub_f16_e32 v26, v57, v55
	v_sub_f16_e32 v42, v56, v54
	v_add_f16_e32 v39, v58, v56
	v_sub_f16_e32 v41, v54, v58
	v_mul_f16_e32 v23, 0x3a52, v23
	v_mul_f16_e32 v40, 0x3846, v40
	v_add_f16_e32 v9, v9, v20
	v_fmac_f16_e32 v16, v11, v43
	v_fma_f16 v11, v22, v43, -v44
	v_sub_f16_e32 v22, v55, v53
	v_mul_f16_e32 v43, 0x2b26, v26
	v_mul_f16_e32 v44, 0xbb00, v42
	v_add_f16_e32 v39, v39, v54
	v_fmamk_f16 v26, v26, 0x2b26, v23
	v_fmamk_f16 v45, v41, 0xb574, v40
	;; [unrolled: 1-line block ×3, first 2 shown]
	v_fma_f16 v43, v22, 0x39e0, -v43
	v_fma_f16 v41, v41, 0x3574, -v44
	;; [unrolled: 1-line block ×4, first 2 shown]
	v_fmac_f16_e32 v45, 0xb70e, v39
	v_add_f16_e32 v23, v26, v20
	v_fmac_f16_e32 v41, 0xb70e, v39
	v_add_f16_e32 v22, v22, v20
	;; [unrolled: 2-line block ×3, first 2 shown]
	v_fmac_f16_e32 v18, v10, v47
	v_fma_f16 v26, v19, v47, -v52
	v_add_f16_e32 v10, v45, v23
	v_add_f16_e32 v19, v41, v22
	v_sub_f16_e32 v39, v20, v40
	v_add_f16_e32 v20, v40, v20
	v_sub_f16_e32 v22, v22, v41
	v_sub_f16_e32 v23, v23, v45
	ds_store_b16 v21, v9
	ds_store_b16 v21, v10 offset:66
	ds_store_b16 v21, v19 offset:132
	;; [unrolled: 1-line block ×6, first 2 shown]
	s_and_saveexec_b32 s1, s0
	s_cbranch_execz .LBB0_31
; %bb.30:
	v_add_f16_e32 v9, v14, v18
	v_add_f16_e32 v10, v13, v17
	;; [unrolled: 1-line block ×3, first 2 shown]
	v_sub_f16_e32 v22, v11, v5
	v_sub_f16_e32 v39, v25, v12
	;; [unrolled: 1-line block ×3, first 2 shown]
	v_add_f16_e32 v23, v10, v9
	v_sub_f16_e32 v40, v9, v19
	v_sub_f16_e32 v41, v19, v10
	;; [unrolled: 1-line block ×4, first 2 shown]
	v_add_f16_e32 v19, v19, v23
	v_sub_f16_e32 v23, v22, v39
	v_add_f16_e32 v22, v22, v39
	v_sub_f16_e32 v39, v39, v20
	v_mul_f16_e32 v10, 0x3a52, v40
	v_add_f16_e32 v1, v1, v19
	v_mul_f16_e32 v23, 0x3846, v23
	v_add_f16_e32 v20, v22, v20
	v_mul_f16_e32 v40, 0xbb00, v39
	v_fmamk_f16 v22, v41, 0x2b26, v10
	v_mul_f16_e32 v41, 0x2b26, v41
	v_fmamk_f16 v19, v19, 0xbcab, v1
	v_fmamk_f16 v43, v42, 0xb574, v23
	v_fma_f16 v10, v9, 0xb9e0, -v10
	v_fma_f16 v40, v42, 0x3574, -v40
	;; [unrolled: 1-line block ×4, first 2 shown]
	v_add_f16_e32 v22, v22, v19
	v_fmac_f16_e32 v43, 0xb70e, v20
	v_add_f16_e32 v10, v10, v19
	v_fmac_f16_e32 v40, 0xb70e, v20
	v_fmac_f16_e32 v23, 0xb70e, v20
	v_add_f16_e32 v9, v9, v19
	v_sub_f16_e32 v19, v22, v43
	v_add_f16_e32 v22, v43, v22
	v_sub_f16_e32 v20, v10, v40
	;; [unrolled: 2-line block ×3, first 2 shown]
	v_add_f16_e32 v9, v23, v9
	ds_store_b16 v6, v1 offset:3234
	ds_store_b16 v6, v22 offset:3300
	;; [unrolled: 1-line block ×7, first 2 shown]
.LBB0_31:
	s_wait_alu 0xfffe
	s_or_b32 exec_lo, exec_lo, s1
	v_add_f16_e32 v1, v29, v38
	v_add_f16_e32 v9, v28, v37
	v_sub_f16_e32 v10, v31, v35
	v_add_f16_e32 v19, v27, v36
	v_sub_f16_e32 v20, v30, v34
	v_sub_f16_e32 v22, v33, v32
	v_add_f16_e32 v23, v9, v1
	v_sub_f16_e32 v27, v9, v1
	v_sub_f16_e32 v1, v1, v19
	;; [unrolled: 1-line block ×3, first 2 shown]
	v_add_f16_e32 v28, v22, v20
	v_add_f16_e32 v19, v19, v23
	v_sub_f16_e32 v23, v22, v20
	v_sub_f16_e32 v20, v20, v10
	;; [unrolled: 1-line block ×3, first 2 shown]
	v_add_f16_e32 v10, v28, v10
	v_add_f16_e32 v28, v8, v19
	v_mul_f16_e32 v1, 0x3a52, v1
	v_mul_f16_e32 v8, 0x2b26, v9
	v_mul_f16_e32 v23, 0x3846, v23
	v_mul_f16_e32 v29, 0xbb00, v20
	v_fmamk_f16 v19, v19, 0xbcab, v28
	v_fmamk_f16 v9, v9, 0x2b26, v1
	v_fma_f16 v8, v27, 0x39e0, -v8
	v_fma_f16 v1, v27, 0xb9e0, -v1
	v_fmamk_f16 v27, v22, 0xb574, v23
	v_fma_f16 v30, v20, 0xbb00, -v23
	v_fma_f16 v29, v22, 0x3574, -v29
	v_add_f16_e32 v31, v9, v19
	v_add_f16_e32 v32, v8, v19
	;; [unrolled: 1-line block ×3, first 2 shown]
	v_fmac_f16_e32 v27, 0xb70e, v10
	v_fmac_f16_e32 v30, 0xb70e, v10
	;; [unrolled: 1-line block ×3, first 2 shown]
	global_wb scope:SCOPE_SE
	s_wait_dscnt 0x0
	s_barrier_signal -1
	s_barrier_wait -1
	global_inv scope:SCOPE_SE
	ds_load_u16 v1, v4
	ds_load_u16 v9, v4 offset:3234
	ds_load_u16 v19, v4 offset:2772
	;; [unrolled: 1-line block ×7, first 2 shown]
	v_sub_f16_e32 v34, v31, v27
	v_sub_f16_e32 v35, v33, v29
	v_add_f16_e32 v36, v30, v32
	v_sub_f16_e32 v30, v32, v30
	v_add_f16_e32 v29, v29, v33
	v_add_f16_e32 v27, v27, v31
	global_wb scope:SCOPE_SE
	s_wait_dscnt 0x0
	s_barrier_signal -1
	s_barrier_wait -1
	global_inv scope:SCOPE_SE
	ds_store_b16 v21, v28
	ds_store_b16 v21, v34 offset:66
	ds_store_b16 v21, v35 offset:132
	ds_store_b16 v21, v36 offset:198
	ds_store_b16 v21, v30 offset:264
	ds_store_b16 v21, v29 offset:330
	ds_store_b16 v21, v27 offset:396
	s_and_saveexec_b32 s1, s0
	s_cbranch_execz .LBB0_33
; %bb.32:
	v_add_f16_e32 v21, v24, v26
	v_add_f16_e32 v12, v25, v12
	;; [unrolled: 1-line block ×3, first 2 shown]
	v_sub_f16_e32 v11, v13, v17
	v_sub_f16_e32 v13, v16, v15
	v_sub_f16_e32 v14, v14, v18
	v_add_f16_e32 v15, v12, v21
	v_sub_f16_e32 v16, v12, v21
	v_sub_f16_e32 v17, v21, v5
	;; [unrolled: 1-line block ×3, first 2 shown]
	v_add_f16_e32 v18, v13, v11
	v_add_f16_e32 v5, v5, v15
	v_sub_f16_e32 v15, v13, v11
	v_sub_f16_e32 v11, v11, v14
	v_sub_f16_e32 v13, v14, v13
	v_add_f16_e32 v14, v18, v14
	v_add_f16_e32 v7, v7, v5
	v_mul_f16_e32 v17, 0x3a52, v17
	v_mul_f16_e32 v18, 0x2b26, v12
	;; [unrolled: 1-line block ×4, first 2 shown]
	v_fmamk_f16 v5, v5, 0xbcab, v7
	v_fmamk_f16 v12, v12, 0x2b26, v17
	v_fma_f16 v18, v16, 0x39e0, -v18
	v_fma_f16 v16, v16, 0xb9e0, -v17
	v_fmamk_f16 v17, v13, 0xb574, v15
	v_fma_f16 v13, v13, 0x3574, -v21
	v_fma_f16 v11, v11, 0xbb00, -v15
	v_add_f16_e32 v12, v12, v5
	v_add_f16_e32 v15, v18, v5
	v_fmac_f16_e32 v17, 0xb70e, v14
	v_add_f16_e32 v5, v16, v5
	v_fmac_f16_e32 v13, 0xb70e, v14
	v_fmac_f16_e32 v11, 0xb70e, v14
	s_delay_alu instid0(VALU_DEP_4) | instskip(SKIP_1) | instid1(VALU_DEP_4)
	v_sub_f16_e32 v14, v12, v17
	v_add_f16_e32 v12, v17, v12
	v_sub_f16_e32 v16, v5, v13
	s_delay_alu instid0(VALU_DEP_4)
	v_add_f16_e32 v18, v11, v15
	v_sub_f16_e32 v11, v15, v11
	v_add_f16_e32 v5, v13, v5
	ds_store_b16 v6, v7 offset:3234
	ds_store_b16 v6, v14 offset:3300
	;; [unrolled: 1-line block ×7, first 2 shown]
.LBB0_33:
	s_wait_alu 0xfffe
	s_or_b32 exec_lo, exec_lo, s1
	v_mul_u32_u24_e32 v5, 3, v0
	global_wb scope:SCOPE_SE
	s_wait_dscnt 0x0
	s_barrier_signal -1
	s_barrier_wait -1
	global_inv scope:SCOPE_SE
	v_lshlrev_b32_e32 v5, 2, v5
	global_load_b96 v[5:7], v5, s[4:5] offset:912
	ds_load_u16 v11, v4 offset:924
	ds_load_u16 v12, v4 offset:1848
	;; [unrolled: 1-line block ×6, first 2 shown]
	ds_load_u16 v17, v4
	ds_load_u16 v18, v4 offset:462
	global_wb scope:SCOPE_SE
	s_wait_loadcnt_dscnt 0x0
	s_barrier_signal -1
	s_barrier_wait -1
	global_inv scope:SCOPE_SE
	v_lshrrev_b32_e32 v21, 16, v5
	v_lshrrev_b32_e32 v24, 16, v6
	;; [unrolled: 1-line block ×3, first 2 shown]
	s_delay_alu instid0(VALU_DEP_3) | instskip(NEXT) | instid1(VALU_DEP_3)
	v_mul_f16_e32 v26, v11, v21
	v_mul_f16_e32 v28, v12, v24
	;; [unrolled: 1-line block ×3, first 2 shown]
	s_delay_alu instid0(VALU_DEP_4)
	v_mul_f16_e32 v30, v14, v25
	v_mul_f16_e32 v27, v23, v21
	;; [unrolled: 1-line block ×8, first 2 shown]
	v_fmac_f16_e32 v26, v23, v5
	v_fmac_f16_e32 v28, v22, v6
	v_fma_f16 v12, v12, v6, -v29
	v_fmac_f16_e32 v30, v19, v7
	v_mul_f16_e32 v21, v20, v21
	v_fma_f16 v11, v11, v5, -v27
	v_fma_f16 v14, v14, v7, -v31
	v_fmac_f16_e32 v32, v20, v5
	v_fmac_f16_e32 v33, v10, v6
	v_fma_f16 v6, v15, v6, -v24
	v_fmac_f16_e32 v34, v9, v7
	v_fma_f16 v7, v13, v7, -v25
	v_sub_f16_e32 v9, v1, v28
	v_sub_f16_e32 v13, v17, v12
	;; [unrolled: 1-line block ×3, first 2 shown]
	v_fma_f16 v5, v16, v5, -v21
	v_sub_f16_e32 v12, v11, v14
	v_sub_f16_e32 v14, v8, v33
	;; [unrolled: 1-line block ×4, first 2 shown]
	v_fma_f16 v1, v1, 2.0, -v9
	v_fma_f16 v16, v17, 2.0, -v13
	;; [unrolled: 1-line block ×3, first 2 shown]
	v_sub_f16_e32 v7, v5, v7
	v_fma_f16 v11, v11, 2.0, -v12
	v_add_f16_e32 v12, v9, v12
	v_sub_f16_e32 v19, v13, v10
	v_fma_f16 v8, v8, 2.0, -v14
	v_fma_f16 v10, v32, 2.0, -v6
	v_sub_f16_e32 v17, v1, v17
	v_fma_f16 v18, v18, 2.0, -v15
	v_fma_f16 v5, v5, 2.0, -v7
	v_add_f16_e32 v7, v14, v7
	v_sub_f16_e32 v20, v15, v6
	v_fma_f16 v6, v9, 2.0, -v12
	v_sub_f16_e32 v9, v8, v10
	v_fma_f16 v1, v1, 2.0, -v17
	;; [unrolled: 2-line block ×4, first 2 shown]
	ds_store_b16 v4, v1
	ds_store_b16 v4, v6 offset:462
	ds_store_b16 v4, v17 offset:924
	;; [unrolled: 1-line block ×7, first 2 shown]
	global_wb scope:SCOPE_SE
	s_wait_dscnt 0x0
	s_barrier_signal -1
	s_barrier_wait -1
	global_inv scope:SCOPE_SE
	ds_load_u16 v5, v4
	ds_load_u16 v6, v4 offset:462
	ds_load_u16 v7, v4 offset:924
	;; [unrolled: 1-line block ×7, first 2 shown]
	v_fma_f16 v14, v16, 2.0, -v21
	v_fma_f16 v1, v13, 2.0, -v19
	;; [unrolled: 1-line block ×4, first 2 shown]
	global_wb scope:SCOPE_SE
	s_wait_dscnt 0x0
	s_barrier_signal -1
	s_barrier_wait -1
	global_inv scope:SCOPE_SE
	ds_store_b16 v4, v14
	ds_store_b16 v4, v1 offset:462
	ds_store_b16 v4, v21 offset:924
	;; [unrolled: 1-line block ×7, first 2 shown]
	global_wb scope:SCOPE_SE
	s_wait_dscnt 0x0
	s_barrier_signal -1
	s_barrier_wait -1
	global_inv scope:SCOPE_SE
	s_and_saveexec_b32 s0, vcc_lo
	s_cbranch_execz .LBB0_35
; %bb.34:
	v_mov_b32_e32 v1, 0
	s_delay_alu instid0(VALU_DEP_1) | instskip(NEXT) | instid1(VALU_DEP_1)
	v_lshlrev_b64_e32 v[13:14], 2, v[0:1]
	v_add_co_u32 v15, vcc_lo, s4, v13
	s_wait_alu 0xfffd
	s_delay_alu instid0(VALU_DEP_2)
	v_add_co_ci_u32_e32 v16, vcc_lo, s5, v14, vcc_lo
	v_add_co_u32 v28, vcc_lo, s8, v2
	s_wait_alu 0xfffd
	v_add_co_ci_u32_e32 v29, vcc_lo, s9, v3, vcc_lo
	s_clause 0x3
	global_load_b32 v17, v[15:16], off offset:6456
	global_load_b32 v18, v[15:16], off offset:5532
	;; [unrolled: 1-line block ×4, first 2 shown]
	v_add_nc_u32_e32 v15, 0x1ce, v0
	v_add_nc_u32_e32 v0, 0x2b5, v0
	v_mov_b32_e32 v16, v1
	ds_load_u16 v21, v4 offset:3234
	ds_load_u16 v22, v4 offset:2772
	;; [unrolled: 1-line block ×7, first 2 shown]
	ds_load_u16 v4, v4
	v_lshrrev_b32_e32 v15, 2, v15
	v_lshrrev_b32_e32 v0, 2, v0
	v_add_co_u32 v13, vcc_lo, v28, v13
	s_wait_alu 0xfffd
	v_add_co_ci_u32_e32 v14, vcc_lo, v29, v14, vcc_lo
	v_mul_hi_u32 v15, 0x23769481, v15
	v_mul_hi_u32 v0, 0x23769481, v0
	s_delay_alu instid0(VALU_DEP_2) | instskip(NEXT) | instid1(VALU_DEP_2)
	v_lshrrev_b32_e32 v15, 5, v15
	v_lshrrev_b32_e32 v0, 5, v0
	s_delay_alu instid0(VALU_DEP_2) | instskip(NEXT) | instid1(VALU_DEP_2)
	v_mul_u32_u24_e32 v15, 0x39c, v15
	v_mul_u32_u24_e32 v0, 0x39c, v0
	s_delay_alu instid0(VALU_DEP_2) | instskip(NEXT) | instid1(VALU_DEP_2)
	v_lshlrev_b64_e32 v[2:3], 2, v[15:16]
	v_lshlrev_b64_e32 v[0:1], 2, v[0:1]
	s_delay_alu instid0(VALU_DEP_2) | instskip(SKIP_1) | instid1(VALU_DEP_3)
	v_add_co_u32 v2, vcc_lo, v13, v2
	s_wait_alu 0xfffd
	v_add_co_ci_u32_e32 v3, vcc_lo, v14, v3, vcc_lo
	s_delay_alu instid0(VALU_DEP_3)
	v_add_co_u32 v0, vcc_lo, v13, v0
	s_wait_alu 0xfffd
	v_add_co_ci_u32_e32 v1, vcc_lo, v14, v1, vcc_lo
	s_wait_loadcnt 0x3
	v_lshrrev_b32_e32 v15, 16, v17
	s_wait_loadcnt 0x2
	v_lshrrev_b32_e32 v28, 16, v18
	;; [unrolled: 2-line block ×4, first 2 shown]
	v_mul_f16_e32 v33, v10, v20
	v_mul_f16_e32 v31, v9, v19
	v_mul_f16_e32 v16, v12, v17
	v_mul_f16_e32 v9, v9, v30
	v_mul_f16_e32 v10, v10, v32
	v_mul_f16_e32 v29, v11, v18
	v_mul_f16_e32 v12, v12, v15
	v_mul_f16_e32 v11, v11, v28
	s_wait_dscnt 0x4
	v_fmac_f16_e32 v33, v24, v32
	v_fma_f16 v10, v24, v20, -v10
	v_fmac_f16_e32 v31, v23, v30
	v_fma_f16 v9, v23, v19, -v9
	v_fmac_f16_e32 v16, v21, v15
	v_fmac_f16_e32 v29, v22, v28
	v_fma_f16 v12, v21, v17, -v12
	v_fma_f16 v11, v22, v18, -v11
	v_sub_f16_e32 v18, v5, v33
	s_wait_dscnt 0x0
	v_sub_f16_e32 v10, v4, v10
	v_sub_f16_e32 v17, v6, v31
	;; [unrolled: 1-line block ×7, first 2 shown]
	v_fma_f16 v5, v5, 2.0, -v18
	v_fma_f16 v4, v4, 2.0, -v10
	;; [unrolled: 1-line block ×8, first 2 shown]
	v_pack_b32_f16 v4, v5, v4
	v_pack_b32_f16 v5, v6, v21
	;; [unrolled: 1-line block ×8, first 2 shown]
	s_clause 0x7
	global_store_b32 v[13:14], v4, off
	global_store_b32 v[13:14], v5, off offset:924
	global_store_b32 v[13:14], v10, off offset:3696
	;; [unrolled: 1-line block ×7, first 2 shown]
.LBB0_35:
	s_nop 0
	s_sendmsg sendmsg(MSG_DEALLOC_VGPRS)
	s_endpgm
	.section	.rodata,"a",@progbits
	.p2align	6, 0x0
	.amdhsa_kernel fft_rtc_back_len1848_factors_3_11_7_4_2_wgs_231_tpt_231_halfLds_half_ip_CI_unitstride_sbrr_dirReg
		.amdhsa_group_segment_fixed_size 0
		.amdhsa_private_segment_fixed_size 0
		.amdhsa_kernarg_size 88
		.amdhsa_user_sgpr_count 2
		.amdhsa_user_sgpr_dispatch_ptr 0
		.amdhsa_user_sgpr_queue_ptr 0
		.amdhsa_user_sgpr_kernarg_segment_ptr 1
		.amdhsa_user_sgpr_dispatch_id 0
		.amdhsa_user_sgpr_private_segment_size 0
		.amdhsa_wavefront_size32 1
		.amdhsa_uses_dynamic_stack 0
		.amdhsa_enable_private_segment 0
		.amdhsa_system_sgpr_workgroup_id_x 1
		.amdhsa_system_sgpr_workgroup_id_y 0
		.amdhsa_system_sgpr_workgroup_id_z 0
		.amdhsa_system_sgpr_workgroup_info 0
		.amdhsa_system_vgpr_workitem_id 0
		.amdhsa_next_free_vgpr 65
		.amdhsa_next_free_sgpr 32
		.amdhsa_reserve_vcc 1
		.amdhsa_float_round_mode_32 0
		.amdhsa_float_round_mode_16_64 0
		.amdhsa_float_denorm_mode_32 3
		.amdhsa_float_denorm_mode_16_64 3
		.amdhsa_fp16_overflow 0
		.amdhsa_workgroup_processor_mode 1
		.amdhsa_memory_ordered 1
		.amdhsa_forward_progress 0
		.amdhsa_round_robin_scheduling 0
		.amdhsa_exception_fp_ieee_invalid_op 0
		.amdhsa_exception_fp_denorm_src 0
		.amdhsa_exception_fp_ieee_div_zero 0
		.amdhsa_exception_fp_ieee_overflow 0
		.amdhsa_exception_fp_ieee_underflow 0
		.amdhsa_exception_fp_ieee_inexact 0
		.amdhsa_exception_int_div_zero 0
	.end_amdhsa_kernel
	.text
.Lfunc_end0:
	.size	fft_rtc_back_len1848_factors_3_11_7_4_2_wgs_231_tpt_231_halfLds_half_ip_CI_unitstride_sbrr_dirReg, .Lfunc_end0-fft_rtc_back_len1848_factors_3_11_7_4_2_wgs_231_tpt_231_halfLds_half_ip_CI_unitstride_sbrr_dirReg
                                        ; -- End function
	.section	.AMDGPU.csdata,"",@progbits
; Kernel info:
; codeLenInByte = 8536
; NumSgprs: 34
; NumVgprs: 65
; ScratchSize: 0
; MemoryBound: 0
; FloatMode: 240
; IeeeMode: 1
; LDSByteSize: 0 bytes/workgroup (compile time only)
; SGPRBlocks: 4
; VGPRBlocks: 8
; NumSGPRsForWavesPerEU: 34
; NumVGPRsForWavesPerEU: 65
; Occupancy: 16
; WaveLimiterHint : 1
; COMPUTE_PGM_RSRC2:SCRATCH_EN: 0
; COMPUTE_PGM_RSRC2:USER_SGPR: 2
; COMPUTE_PGM_RSRC2:TRAP_HANDLER: 0
; COMPUTE_PGM_RSRC2:TGID_X_EN: 1
; COMPUTE_PGM_RSRC2:TGID_Y_EN: 0
; COMPUTE_PGM_RSRC2:TGID_Z_EN: 0
; COMPUTE_PGM_RSRC2:TIDIG_COMP_CNT: 0
	.text
	.p2alignl 7, 3214868480
	.fill 96, 4, 3214868480
	.type	__hip_cuid_b0fe29dfb5b3c167,@object ; @__hip_cuid_b0fe29dfb5b3c167
	.section	.bss,"aw",@nobits
	.globl	__hip_cuid_b0fe29dfb5b3c167
__hip_cuid_b0fe29dfb5b3c167:
	.byte	0                               ; 0x0
	.size	__hip_cuid_b0fe29dfb5b3c167, 1

	.ident	"AMD clang version 19.0.0git (https://github.com/RadeonOpenCompute/llvm-project roc-6.4.0 25133 c7fe45cf4b819c5991fe208aaa96edf142730f1d)"
	.section	".note.GNU-stack","",@progbits
	.addrsig
	.addrsig_sym __hip_cuid_b0fe29dfb5b3c167
	.amdgpu_metadata
---
amdhsa.kernels:
  - .args:
      - .actual_access:  read_only
        .address_space:  global
        .offset:         0
        .size:           8
        .value_kind:     global_buffer
      - .offset:         8
        .size:           8
        .value_kind:     by_value
      - .actual_access:  read_only
        .address_space:  global
        .offset:         16
        .size:           8
        .value_kind:     global_buffer
      - .actual_access:  read_only
        .address_space:  global
        .offset:         24
        .size:           8
        .value_kind:     global_buffer
      - .offset:         32
        .size:           8
        .value_kind:     by_value
      - .actual_access:  read_only
        .address_space:  global
        .offset:         40
        .size:           8
        .value_kind:     global_buffer
      - .actual_access:  read_only
        .address_space:  global
        .offset:         48
        .size:           8
        .value_kind:     global_buffer
      - .offset:         56
        .size:           4
        .value_kind:     by_value
      - .actual_access:  read_only
        .address_space:  global
        .offset:         64
        .size:           8
        .value_kind:     global_buffer
      - .actual_access:  read_only
        .address_space:  global
        .offset:         72
        .size:           8
        .value_kind:     global_buffer
      - .address_space:  global
        .offset:         80
        .size:           8
        .value_kind:     global_buffer
    .group_segment_fixed_size: 0
    .kernarg_segment_align: 8
    .kernarg_segment_size: 88
    .language:       OpenCL C
    .language_version:
      - 2
      - 0
    .max_flat_workgroup_size: 231
    .name:           fft_rtc_back_len1848_factors_3_11_7_4_2_wgs_231_tpt_231_halfLds_half_ip_CI_unitstride_sbrr_dirReg
    .private_segment_fixed_size: 0
    .sgpr_count:     34
    .sgpr_spill_count: 0
    .symbol:         fft_rtc_back_len1848_factors_3_11_7_4_2_wgs_231_tpt_231_halfLds_half_ip_CI_unitstride_sbrr_dirReg.kd
    .uniform_work_group_size: 1
    .uses_dynamic_stack: false
    .vgpr_count:     65
    .vgpr_spill_count: 0
    .wavefront_size: 32
    .workgroup_processor_mode: 1
amdhsa.target:   amdgcn-amd-amdhsa--gfx1201
amdhsa.version:
  - 1
  - 2
...

	.end_amdgpu_metadata
